;; amdgpu-corpus repo=ROCm/rocFFT kind=compiled arch=gfx1030 opt=O3
	.text
	.amdgcn_target "amdgcn-amd-amdhsa--gfx1030"
	.amdhsa_code_object_version 6
	.protected	fft_rtc_fwd_len1694_factors_11_2_11_7_wgs_154_tpt_154_halfLds_half_op_CI_CI_unitstride_sbrr_dirReg ; -- Begin function fft_rtc_fwd_len1694_factors_11_2_11_7_wgs_154_tpt_154_halfLds_half_op_CI_CI_unitstride_sbrr_dirReg
	.globl	fft_rtc_fwd_len1694_factors_11_2_11_7_wgs_154_tpt_154_halfLds_half_op_CI_CI_unitstride_sbrr_dirReg
	.p2align	8
	.type	fft_rtc_fwd_len1694_factors_11_2_11_7_wgs_154_tpt_154_halfLds_half_op_CI_CI_unitstride_sbrr_dirReg,@function
fft_rtc_fwd_len1694_factors_11_2_11_7_wgs_154_tpt_154_halfLds_half_op_CI_CI_unitstride_sbrr_dirReg: ; @fft_rtc_fwd_len1694_factors_11_2_11_7_wgs_154_tpt_154_halfLds_half_op_CI_CI_unitstride_sbrr_dirReg
; %bb.0:
	s_clause 0x2
	s_load_dwordx4 s[8:11], s[4:5], 0x0
	s_load_dwordx4 s[12:15], s[4:5], 0x58
	;; [unrolled: 1-line block ×3, first 2 shown]
	v_mul_u32_u24_e32 v1, 0x1aa, v0
	v_mov_b32_e32 v7, 0
	v_mov_b32_e32 v5, 0
	;; [unrolled: 1-line block ×3, first 2 shown]
	v_add_nc_u32_sdwa v9, s6, v1 dst_sel:DWORD dst_unused:UNUSED_PAD src0_sel:DWORD src1_sel:WORD_1
	v_mov_b32_e32 v10, v7
	s_waitcnt lgkmcnt(0)
	v_cmp_lt_u64_e64 s0, s[10:11], 2
	s_and_b32 vcc_lo, exec_lo, s0
	s_cbranch_vccnz .LBB0_8
; %bb.1:
	s_load_dwordx2 s[0:1], s[4:5], 0x10
	v_mov_b32_e32 v5, 0
	v_mov_b32_e32 v6, 0
	s_add_u32 s2, s18, 8
	s_addc_u32 s3, s19, 0
	v_mov_b32_e32 v1, v5
	s_add_u32 s6, s16, 8
	v_mov_b32_e32 v2, v6
	s_addc_u32 s7, s17, 0
	s_mov_b64 s[22:23], 1
	s_waitcnt lgkmcnt(0)
	s_add_u32 s20, s0, 8
	s_addc_u32 s21, s1, 0
.LBB0_2:                                ; =>This Inner Loop Header: Depth=1
	s_load_dwordx2 s[24:25], s[20:21], 0x0
                                        ; implicit-def: $vgpr3_vgpr4
	s_mov_b32 s0, exec_lo
	s_waitcnt lgkmcnt(0)
	v_or_b32_e32 v8, s25, v10
	v_cmpx_ne_u64_e32 0, v[7:8]
	s_xor_b32 s1, exec_lo, s0
	s_cbranch_execz .LBB0_4
; %bb.3:                                ;   in Loop: Header=BB0_2 Depth=1
	v_cvt_f32_u32_e32 v3, s24
	v_cvt_f32_u32_e32 v4, s25
	s_sub_u32 s0, 0, s24
	s_subb_u32 s26, 0, s25
	v_fmac_f32_e32 v3, 0x4f800000, v4
	v_rcp_f32_e32 v3, v3
	v_mul_f32_e32 v3, 0x5f7ffffc, v3
	v_mul_f32_e32 v4, 0x2f800000, v3
	v_trunc_f32_e32 v4, v4
	v_fmac_f32_e32 v3, 0xcf800000, v4
	v_cvt_u32_f32_e32 v4, v4
	v_cvt_u32_f32_e32 v3, v3
	v_mul_lo_u32 v8, s0, v4
	v_mul_hi_u32 v11, s0, v3
	v_mul_lo_u32 v12, s26, v3
	v_add_nc_u32_e32 v8, v11, v8
	v_mul_lo_u32 v11, s0, v3
	v_add_nc_u32_e32 v8, v8, v12
	v_mul_hi_u32 v12, v3, v11
	v_mul_lo_u32 v13, v3, v8
	v_mul_hi_u32 v14, v3, v8
	v_mul_hi_u32 v15, v4, v11
	v_mul_lo_u32 v11, v4, v11
	v_mul_hi_u32 v16, v4, v8
	v_mul_lo_u32 v8, v4, v8
	v_add_co_u32 v12, vcc_lo, v12, v13
	v_add_co_ci_u32_e32 v13, vcc_lo, 0, v14, vcc_lo
	v_add_co_u32 v11, vcc_lo, v12, v11
	v_add_co_ci_u32_e32 v11, vcc_lo, v13, v15, vcc_lo
	v_add_co_ci_u32_e32 v12, vcc_lo, 0, v16, vcc_lo
	v_add_co_u32 v8, vcc_lo, v11, v8
	v_add_co_ci_u32_e32 v11, vcc_lo, 0, v12, vcc_lo
	v_add_co_u32 v3, vcc_lo, v3, v8
	v_add_co_ci_u32_e32 v4, vcc_lo, v4, v11, vcc_lo
	v_mul_hi_u32 v8, s0, v3
	v_mul_lo_u32 v12, s26, v3
	v_mul_lo_u32 v11, s0, v4
	v_add_nc_u32_e32 v8, v8, v11
	v_mul_lo_u32 v11, s0, v3
	v_add_nc_u32_e32 v8, v8, v12
	v_mul_hi_u32 v12, v3, v11
	v_mul_lo_u32 v13, v3, v8
	v_mul_hi_u32 v14, v3, v8
	v_mul_hi_u32 v15, v4, v11
	v_mul_lo_u32 v11, v4, v11
	v_mul_hi_u32 v16, v4, v8
	v_mul_lo_u32 v8, v4, v8
	v_add_co_u32 v12, vcc_lo, v12, v13
	v_add_co_ci_u32_e32 v13, vcc_lo, 0, v14, vcc_lo
	v_add_co_u32 v11, vcc_lo, v12, v11
	v_add_co_ci_u32_e32 v11, vcc_lo, v13, v15, vcc_lo
	v_add_co_ci_u32_e32 v12, vcc_lo, 0, v16, vcc_lo
	v_add_co_u32 v8, vcc_lo, v11, v8
	v_add_co_ci_u32_e32 v11, vcc_lo, 0, v12, vcc_lo
	v_add_co_u32 v8, vcc_lo, v3, v8
	v_add_co_ci_u32_e32 v13, vcc_lo, v4, v11, vcc_lo
	v_mul_hi_u32 v15, v9, v8
	v_mad_u64_u32 v[11:12], null, v10, v8, 0
	v_mad_u64_u32 v[3:4], null, v9, v13, 0
	;; [unrolled: 1-line block ×3, first 2 shown]
	v_add_co_u32 v3, vcc_lo, v15, v3
	v_add_co_ci_u32_e32 v4, vcc_lo, 0, v4, vcc_lo
	v_add_co_u32 v3, vcc_lo, v3, v11
	v_add_co_ci_u32_e32 v3, vcc_lo, v4, v12, vcc_lo
	v_add_co_ci_u32_e32 v4, vcc_lo, 0, v14, vcc_lo
	v_add_co_u32 v8, vcc_lo, v3, v13
	v_add_co_ci_u32_e32 v11, vcc_lo, 0, v4, vcc_lo
	v_mul_lo_u32 v12, s25, v8
	v_mad_u64_u32 v[3:4], null, s24, v8, 0
	v_mul_lo_u32 v13, s24, v11
	v_sub_co_u32 v3, vcc_lo, v9, v3
	v_add3_u32 v4, v4, v13, v12
	v_sub_nc_u32_e32 v12, v10, v4
	v_subrev_co_ci_u32_e64 v12, s0, s25, v12, vcc_lo
	v_add_co_u32 v13, s0, v8, 2
	v_add_co_ci_u32_e64 v14, s0, 0, v11, s0
	v_sub_co_u32 v15, s0, v3, s24
	v_sub_co_ci_u32_e32 v4, vcc_lo, v10, v4, vcc_lo
	v_subrev_co_ci_u32_e64 v12, s0, 0, v12, s0
	v_cmp_le_u32_e32 vcc_lo, s24, v15
	v_cmp_eq_u32_e64 s0, s25, v4
	v_cndmask_b32_e64 v15, 0, -1, vcc_lo
	v_cmp_le_u32_e32 vcc_lo, s25, v12
	v_cndmask_b32_e64 v16, 0, -1, vcc_lo
	v_cmp_le_u32_e32 vcc_lo, s24, v3
	;; [unrolled: 2-line block ×3, first 2 shown]
	v_cndmask_b32_e64 v17, 0, -1, vcc_lo
	v_cmp_eq_u32_e32 vcc_lo, s25, v12
	v_cndmask_b32_e64 v3, v17, v3, s0
	v_cndmask_b32_e32 v12, v16, v15, vcc_lo
	v_add_co_u32 v15, vcc_lo, v8, 1
	v_add_co_ci_u32_e32 v16, vcc_lo, 0, v11, vcc_lo
	v_cmp_ne_u32_e32 vcc_lo, 0, v12
	v_cndmask_b32_e32 v4, v16, v14, vcc_lo
	v_cndmask_b32_e32 v12, v15, v13, vcc_lo
	v_cmp_ne_u32_e32 vcc_lo, 0, v3
	v_cndmask_b32_e32 v4, v11, v4, vcc_lo
	v_cndmask_b32_e32 v3, v8, v12, vcc_lo
.LBB0_4:                                ;   in Loop: Header=BB0_2 Depth=1
	s_andn2_saveexec_b32 s0, s1
	s_cbranch_execz .LBB0_6
; %bb.5:                                ;   in Loop: Header=BB0_2 Depth=1
	v_cvt_f32_u32_e32 v3, s24
	s_sub_i32 s1, 0, s24
	v_rcp_iflag_f32_e32 v3, v3
	v_mul_f32_e32 v3, 0x4f7ffffe, v3
	v_cvt_u32_f32_e32 v3, v3
	v_mul_lo_u32 v4, s1, v3
	v_mul_hi_u32 v4, v3, v4
	v_add_nc_u32_e32 v3, v3, v4
	v_mul_hi_u32 v3, v9, v3
	v_mul_lo_u32 v4, v3, s24
	v_add_nc_u32_e32 v8, 1, v3
	v_sub_nc_u32_e32 v4, v9, v4
	v_subrev_nc_u32_e32 v11, s24, v4
	v_cmp_le_u32_e32 vcc_lo, s24, v4
	v_cndmask_b32_e32 v4, v4, v11, vcc_lo
	v_cndmask_b32_e32 v3, v3, v8, vcc_lo
	v_cmp_le_u32_e32 vcc_lo, s24, v4
	v_add_nc_u32_e32 v8, 1, v3
	v_mov_b32_e32 v4, v7
	v_cndmask_b32_e32 v3, v3, v8, vcc_lo
.LBB0_6:                                ;   in Loop: Header=BB0_2 Depth=1
	s_or_b32 exec_lo, exec_lo, s0
	v_mul_lo_u32 v8, v4, s24
	v_mul_lo_u32 v13, v3, s25
	s_load_dwordx2 s[0:1], s[6:7], 0x0
	v_mad_u64_u32 v[11:12], null, v3, s24, 0
	s_load_dwordx2 s[24:25], s[2:3], 0x0
	s_add_u32 s22, s22, 1
	s_addc_u32 s23, s23, 0
	s_add_u32 s2, s2, 8
	s_addc_u32 s3, s3, 0
	s_add_u32 s6, s6, 8
	v_add3_u32 v8, v12, v13, v8
	v_sub_co_u32 v9, vcc_lo, v9, v11
	s_addc_u32 s7, s7, 0
	s_add_u32 s20, s20, 8
	v_sub_co_ci_u32_e32 v8, vcc_lo, v10, v8, vcc_lo
	s_addc_u32 s21, s21, 0
	s_waitcnt lgkmcnt(0)
	v_mul_lo_u32 v10, s0, v8
	v_mul_lo_u32 v11, s1, v9
	v_mad_u64_u32 v[5:6], null, s0, v9, v[5:6]
	v_mul_lo_u32 v8, s24, v8
	v_mul_lo_u32 v12, s25, v9
	v_mad_u64_u32 v[1:2], null, s24, v9, v[1:2]
	v_cmp_ge_u64_e64 s0, s[22:23], s[10:11]
	v_add3_u32 v6, v11, v6, v10
	v_add3_u32 v2, v12, v2, v8
	s_and_b32 vcc_lo, exec_lo, s0
	s_cbranch_vccnz .LBB0_9
; %bb.7:                                ;   in Loop: Header=BB0_2 Depth=1
	v_mov_b32_e32 v10, v4
	v_mov_b32_e32 v9, v3
	s_branch .LBB0_2
.LBB0_8:
	v_mov_b32_e32 v1, v5
	v_mov_b32_e32 v3, v9
	;; [unrolled: 1-line block ×4, first 2 shown]
.LBB0_9:
	s_load_dwordx2 s[0:1], s[4:5], 0x28
	v_mul_hi_u32 v9, 0x1a98ef7, v0
	s_lshl_b64 s[4:5], s[10:11], 3
                                        ; implicit-def: $sgpr6
                                        ; implicit-def: $vgpr7
	s_add_u32 s2, s18, s4
	s_addc_u32 s3, s19, s5
	s_waitcnt lgkmcnt(0)
	v_cmp_gt_u64_e32 vcc_lo, s[0:1], v[3:4]
	v_cmp_le_u64_e64 s0, s[0:1], v[3:4]
	s_and_saveexec_b32 s1, s0
	s_xor_b32 s0, exec_lo, s1
; %bb.10:
	v_mul_u32_u24_e32 v5, 0x9a, v9
	s_mov_b32 s6, 0
                                        ; implicit-def: $vgpr9
	v_sub_nc_u32_e32 v7, v0, v5
                                        ; implicit-def: $vgpr0
                                        ; implicit-def: $vgpr5_vgpr6
; %bb.11:
	s_or_saveexec_b32 s1, s0
	v_mov_b32_e32 v8, s6
                                        ; implicit-def: $vgpr38
                                        ; implicit-def: $vgpr35
                                        ; implicit-def: $vgpr36
                                        ; implicit-def: $vgpr32
                                        ; implicit-def: $vgpr33
                                        ; implicit-def: $vgpr31
                                        ; implicit-def: $vgpr30
                                        ; implicit-def: $vgpr28
                                        ; implicit-def: $vgpr29
                                        ; implicit-def: $vgpr21
                                        ; implicit-def: $vgpr27
                                        ; implicit-def: $vgpr22
                                        ; implicit-def: $vgpr26
                                        ; implicit-def: $vgpr34
                                        ; implicit-def: $vgpr25
                                        ; implicit-def: $vgpr37
                                        ; implicit-def: $vgpr24
                                        ; implicit-def: $vgpr39
                                        ; implicit-def: $vgpr23
                                        ; implicit-def: $vgpr40
	s_xor_b32 exec_lo, exec_lo, s1
	s_cbranch_execz .LBB0_13
; %bb.12:
	s_add_u32 s4, s16, s4
	s_addc_u32 s5, s17, s5
	v_lshlrev_b64 v[5:6], 2, v[5:6]
	s_load_dwordx2 s[4:5], s[4:5], 0x0
	s_waitcnt lgkmcnt(0)
	v_mul_lo_u32 v10, s5, v3
	v_mul_lo_u32 v11, s4, v4
	v_mad_u64_u32 v[7:8], null, s4, v3, 0
	v_add3_u32 v8, v8, v11, v10
	v_mul_u32_u24_e32 v10, 0x9a, v9
	v_lshlrev_b64 v[8:9], 2, v[7:8]
	v_sub_nc_u32_e32 v7, v0, v10
	v_add_co_u32 v0, s0, s12, v8
	v_add_co_ci_u32_e64 v8, s0, s13, v9, s0
	v_lshlrev_b32_e32 v9, 2, v7
	v_add_co_u32 v0, s0, v0, v5
	v_add_co_ci_u32_e64 v6, s0, v8, v6, s0
	v_add_co_u32 v5, s0, v0, v9
	v_add_co_ci_u32_e64 v6, s0, 0, v6, s0
	;; [unrolled: 2-line block ×5, first 2 shown]
	s_clause 0xa
	global_load_dword v35, v[5:6], off offset:616
	global_load_dword v32, v[5:6], off offset:1232
	global_load_dword v31, v[5:6], off offset:1848
	global_load_dword v28, v[8:9], off offset:416
	global_load_dword v21, v[8:9], off offset:1032
	global_load_dword v22, v[8:9], off offset:1648
	global_load_dword v34, v[10:11], off offset:216
	global_load_dword v37, v[10:11], off offset:832
	global_load_dword v39, v[10:11], off offset:1448
	global_load_dword v40, v[12:13], off offset:16
	global_load_dword v8, v[5:6], off
	s_waitcnt vmcnt(10)
	v_lshrrev_b32_e32 v38, 16, v35
	s_waitcnt vmcnt(9)
	v_lshrrev_b32_e32 v36, 16, v32
	;; [unrolled: 2-line block ×10, first 2 shown]
.LBB0_13:
	s_or_b32 exec_lo, exec_lo, s1
	v_sub_f16_e32 v9, v38, v23
	v_add_f16_e32 v6, v35, v40
	v_sub_f16_e32 v11, v36, v24
	v_add_f16_e32 v10, v32, v39
	v_sub_f16_e32 v13, v33, v25
	v_mul_f16_e32 v19, 0xb482, v9
	v_add_f16_e32 v12, v31, v37
	v_mul_f16_e32 v41, 0x3853, v11
	v_sub_f16_e32 v15, v30, v26
	v_mul_f16_e32 v43, 0xba0c, v13
	v_fma_f16 v5, v6, 0xbbad, -v19
	v_add_f16_e32 v14, v28, v34
	v_fma_f16 v48, v10, 0x3abb, -v41
	v_mul_f16_e32 v45, 0x3b47, v15
	v_pk_mul_f16 v47, 0xbb47b853, v9 op_sel_hi:[1,0]
	s_waitcnt vmcnt(0)
	v_add_f16_e32 v5, v5, v8
	v_fma_f16 v50, v12, 0xb93d, -v43
	v_add_f16_e32 v0, v35, v8
	v_pk_mul_f16 v49, 0xba0cbb47, v11 op_sel_hi:[1,0]
	v_fma_f16 v51, v14, 0x36a6, -v45
	v_add_f16_e32 v5, v48, v5
	v_fmamk_f16 v52, v6, 0x3abb, v47
	v_pk_fma_f16 v47, 0x36a63abb, v6, v47 op_sel_hi:[1,0,1] neg_lo:[0,0,1] neg_hi:[0,0,1]
	v_add_f16_e32 v0, v32, v0
	v_pk_mul_f16 v54, 0xba0cbbeb, v9 op_sel_hi:[1,0]
	v_add_f16_e32 v5, v50, v5
	v_fmamk_f16 v50, v10, 0x36a6, v49
	v_pk_fma_f16 v49, 0xb93d36a6, v10, v49 op_sel_hi:[1,0,1] neg_lo:[0,0,1] neg_hi:[0,0,1]
	v_add_f16_e32 v52, v52, v8
	v_pk_add_f16 v47, v47, v8 op_sel_hi:[1,0]
	v_add_f16_e32 v5, v51, v5
	v_pk_mul_f16 v51, 0x3482bbeb, v13 op_sel_hi:[1,0]
	v_add_f16_e32 v0, v31, v0
	v_add_f16_e32 v50, v50, v52
	v_pk_add_f16 v47, v49, v47
	v_pk_mul_f16 v52, 0x3bebba0c, v15 op_sel_hi:[1,0]
	v_fmamk_f16 v49, v12, 0xb08e, v51
	v_pk_fma_f16 v51, 0xbbadb08e, v12, v51 op_sel_hi:[1,0,1] neg_lo:[0,0,1] neg_hi:[0,0,1]
	v_mul_f16_e32 v18, 0xbbad, v6
	v_add_f16_e32 v0, v28, v0
	v_pk_mul_f16 v55, 0x3beb3482, v11 op_sel_hi:[1,0]
	v_add_f16_e32 v49, v49, v50
	v_fmamk_f16 v50, v14, 0xb93d, v52
	v_pk_add_f16 v47, v51, v47
	v_pk_fma_f16 v51, 0xb08eb93d, v14, v52 op_sel_hi:[1,0,1] neg_lo:[0,0,1] neg_hi:[0,0,1]
	v_pk_fma_f16 v52, 0xb93db08e, v6, v54 op_sel_hi:[1,0,1] neg_lo:[0,0,1] neg_hi:[0,0,1]
	v_pk_mul_f16 v58, 0xb93db08e, v6 op_sel_hi:[1,0]
	v_mul_f16_e32 v20, 0x3abb, v10
	v_add_f16_e32 v0, v21, v0
	v_pk_add_f16 v47, v51, v47
	v_pk_add_f16 v51, v52, v8 op_sel_hi:[1,0]
	v_pk_fma_f16 v52, 0xb08ebbad, v10, v55 op_sel_hi:[1,0,1] neg_lo:[0,0,1] neg_hi:[0,0,1]
	v_pk_mul_f16 v56, 0xb8533b47, v13 op_sel_hi:[1,0]
	v_bfi_b32 v19, 0xffff, v19, v54
	v_bfi_b32 v18, 0xffff, v18, v58
	v_pk_mul_f16 v54, 0xb08ebbad, v10 op_sel_hi:[1,0]
	v_pk_mul_f16 v6, 0x36a6b08e, v6 op_sel_hi:[1,0]
	v_mul_f16_e32 v42, 0xb93d, v12
	v_add_f16_e32 v0, v22, v0
	v_pk_add_f16 v51, v52, v51
	v_pk_fma_f16 v52, 0x3abb36a6, v12, v56 op_sel_hi:[1,0,1] neg_lo:[0,0,1] neg_hi:[0,0,1]
	v_pk_mul_f16 v59, 0xb482b853, v15 op_sel_hi:[1,0]
	v_pk_mul_f16 v58, 0x3abb36a6, v12 op_sel_hi:[1,0]
	v_pk_add_f16 v18, v19, v18
	v_bfi_b32 v19, 0xffff, v41, v55
	v_bfi_b32 v20, 0xffff, v20, v54
	v_pk_fma_f16 v6, 0xbb47bbeb, v9, v6 op_sel_hi:[1,0,1]
	v_pk_mul_f16 v9, 0xb93dbbad, v10 op_sel_hi:[1,0]
	v_add_f16_e32 v16, v21, v22
	v_sub_f16_e32 v17, v29, v27
	v_mul_f16_e32 v44, 0x36a6, v14
	v_add_f16_e32 v0, v34, v0
	v_pk_add_f16 v51, v52, v51
	v_pk_fma_f16 v52, 0xbbad3abb, v14, v59 op_sel_hi:[1,0,1] neg_lo:[0,0,1] neg_hi:[0,0,1]
	v_pk_mul_f16 v41, 0xbbad3abb, v14 op_sel_hi:[1,0]
	v_pk_add_f16 v18, v18, v8 op_sel_hi:[1,0]
	v_pk_add_f16 v19, v19, v20
	v_bfi_b32 v20, 0xffff, v43, v56
	v_bfi_b32 v42, 0xffff, v42, v58
	v_pk_add_f16 v6, v6, v8 op_sel_hi:[1,0]
	v_pk_fma_f16 v9, 0xba0c3482, v11, v9 op_sel_hi:[1,0,1]
	v_pk_mul_f16 v11, 0xbbad36a6, v12 op_sel_hi:[1,0]
	v_mul_f16_e32 v46, 0xbbeb, v17
	v_add_f16_e32 v0, v37, v0
	v_mul_f16_e32 v53, 0xb08e, v16
	v_add_f16_e32 v49, v50, v49
	v_pk_mul_f16 v50, 0x3853b482, v17 op_sel_hi:[1,0]
	v_pk_add_f16 v51, v52, v51
	v_pk_mul_f16 v52, 0x36a6b93d, v16 op_sel_hi:[1,0]
	v_pk_mul_f16 v43, 0x3b47ba0c, v17 op_sel_hi:[1,0]
	v_pk_add_f16 v18, v19, v18
	v_pk_add_f16 v10, v20, v42
	v_bfi_b32 v19, 0xffff, v45, v59
	v_bfi_b32 v20, 0xffff, v44, v41
	v_pk_add_f16 v6, v9, v6
	v_pk_fma_f16 v9, 0x34823b47, v13, v11 op_sel_hi:[1,0,1]
	v_pk_mul_f16 v11, 0xb08e3abb, v14 op_sel_hi:[1,0]
	v_fma_f16 v48, v16, 0xb08e, -v46
	v_add_f16_e32 v0, v39, v0
	v_fmamk_f16 v57, v16, 0xbbad, v50
	v_pk_fma_f16 v50, 0x3abbbbad, v16, v50 op_sel_hi:[1,0,1] neg_lo:[0,0,1] neg_hi:[0,0,1]
	v_pk_fma_f16 v12, 0x36a6b93d, v16, v43 op_sel_hi:[1,0,1] neg_lo:[0,0,1] neg_hi:[0,0,1]
	v_pk_add_f16 v10, v10, v18
	v_pk_add_f16 v18, v19, v20
	v_bfi_b32 v13, 0xffff, v46, v43
	v_bfi_b32 v14, 0xffff, v53, v52
	v_pk_add_f16 v6, v9, v6
	v_pk_fma_f16 v9, 0x3bebb853, v15, v11 op_sel_hi:[1,0,1]
	v_pk_mul_f16 v11, 0x3abbb93d, v16 op_sel_hi:[1,0]
	v_add_f16_e32 v0, v40, v0
	v_add_f16_e32 v48, v48, v5
	v_pk_add_f16 v10, v18, v10
	v_pk_add_f16 v13, v13, v14
	;; [unrolled: 1-line block ×5, first 2 shown]
	v_pk_fma_f16 v9, 0x3853ba0c, v17, v11 op_sel_hi:[1,0,1]
	v_mad_u32_u24 v5, v7, 22, 0
	v_pk_add_f16 v13, v13, v10
	v_alignbit_b32 v12, v48, v14, 16
	v_alignbit_b32 v11, v14, v15, 16
	v_pack_b32_f16 v10, v0, v15
	v_pk_add_f16 v0, v9, v6
	v_add_f16_e32 v9, v57, v49
	s_load_dwordx2 s[2:3], s[2:3], 0x0
	ds_write_b128 v5, v[10:13]
	ds_write_b32 v5, v0 offset:16
	v_mad_i32_i24 v0, 0xffffffec, v7, v5
	ds_write_b16 v5, v9 offset:20
	s_waitcnt lgkmcnt(0)
	s_barrier
	buffer_gl0_inv
	ds_read_u16 v11, v0 offset:2002
	ds_read_u16 v10, v0 offset:2310
	ds_read_u16 v16, v0
	ds_read_u16 v17, v0 offset:308
	ds_read_u16 v18, v0 offset:616
	;; [unrolled: 1-line block ×7, first 2 shown]
	v_cmp_gt_u32_e64 s0, 0x4d, v7
                                        ; implicit-def: $vgpr13
	s_and_saveexec_b32 s1, s0
	s_cbranch_execz .LBB0_15
; %bb.14:
	ds_read_u16 v9, v0 offset:1540
	ds_read_u16 v13, v0 offset:3234
.LBB0_15:
	s_or_b32 exec_lo, exec_lo, s1
	v_add_f16_sdwa v6, v38, v8 dst_sel:DWORD dst_unused:UNUSED_PAD src0_sel:DWORD src1_sel:WORD_1
	v_sub_f16_e32 v35, v35, v40
	v_add_f16_e32 v38, v38, v23
	v_sub_f16_e32 v32, v32, v39
	v_add_f16_e32 v40, v36, v24
	v_add_f16_e32 v6, v36, v6
	v_mul_f16_e32 v39, 0xb482, v35
	v_pk_mul_f16 v45, 0xbb47b853, v35 op_sel_hi:[1,0]
	v_sub_f16_e32 v31, v31, v37
	v_add_f16_e32 v37, v30, v26
	v_add_f16_e32 v6, v33, v6
	v_pk_mul_f16 v46, 0xba0cbb47, v32 op_sel_hi:[1,0]
	v_fmamk_f16 v47, v38, 0xbbad, v39
	v_add_f16_e32 v36, v33, v25
	v_sub_f16_e32 v28, v28, v34
	v_add_f16_e32 v6, v30, v6
	v_mul_f16_e32 v30, 0x3853, v32
	v_add_f16_e32 v33, v29, v27
	v_mul_f16_e32 v43, 0xba0c, v31
	v_add_f16_sdwa v47, v47, v8 dst_sel:DWORD dst_unused:UNUSED_PAD src0_sel:DWORD src1_sel:WORD_1
	v_add_f16_e32 v6, v29, v6
	v_fma_f16 v50, v40, 0x36a6, -v46
	v_sub_f16_e32 v22, v21, v22
	v_fmamk_f16 v48, v36, 0xb93d, v43
	v_mul_f16_e32 v29, 0x3b47, v28
	v_add_f16_e32 v6, v27, v6
	v_fmamk_f16 v27, v40, 0x3abb, v30
	v_mul_f16_e32 v34, 0xbbad, v38
	v_mul_f16_e32 v41, 0x3abb, v40
	v_fmamk_f16 v49, v37, 0x36a6, v29
	v_add_f16_e32 v6, v26, v6
	v_fma_f16 v26, v38, 0x3abb, -v45
	v_pk_fma_f16 v45, 0x36a63abb, v38, v45 op_sel_hi:[1,0,1]
	v_add_f16_e32 v27, v27, v47
	v_pk_mul_f16 v47, 0x3abbbbad, v33 op_sel_hi:[1,0]
	v_add_f16_e32 v6, v25, v6
	v_pk_fma_f16 v25, 0xb93d36a6, v40, v46 op_sel_hi:[1,0,1]
	v_add_f16_sdwa v26, v26, v8 dst_sel:DWORD dst_unused:UNUSED_PAD src0_sel:DWORD src1_sel:WORD_1
	v_pk_add_f16 v45, v45, v8 op_sel:[0,1]
	v_add_f16_e32 v27, v48, v27
	v_add_f16_e32 v6, v24, v6
	v_pk_mul_f16 v24, 0x3482bbeb, v31 op_sel_hi:[1,0]
	v_add_f16_e32 v26, v50, v26
	v_pk_add_f16 v25, v25, v45
	v_pk_mul_f16 v45, 0x3bebba0c, v28 op_sel_hi:[1,0]
	v_add_f16_e32 v6, v23, v6
	v_fma_f16 v23, v36, 0xb08e, -v24
	v_pk_fma_f16 v24, 0xbbadb08e, v36, v24 op_sel_hi:[1,0,1]
	v_pk_mul_f16 v46, 0xba0cbbeb, v35 op_sel_hi:[1,0]
	v_pk_mul_f16 v48, 0x3853b482, v22 op_sel_hi:[1,0]
	v_add_f16_e32 v27, v49, v27
	v_add_f16_e32 v21, v23, v26
	v_pk_add_f16 v23, v24, v25
	v_fma_f16 v24, v37, 0xb93d, -v45
	v_pk_fma_f16 v25, 0xb93db08e, v38, v46 op_sel_hi:[1,0,1]
	v_pk_mul_f16 v26, 0x3beb3482, v32 op_sel_hi:[1,0]
	v_pk_mul_f16 v35, 0x3b473beb, v35 op_sel_hi:[1,0]
	;; [unrolled: 1-line block ×3, first 2 shown]
	v_add_f16_e32 v21, v24, v21
	v_sub_f16_e32 v24, v47, v48
	v_pk_add_f16 v25, v25, v8 op_sel:[0,1]
	v_pk_fma_f16 v49, 0xb08ebbad, v40, v26 op_sel_hi:[1,0,1]
	v_pk_fma_f16 v35, 0x36a6b08e, v38, v35 op_sel_hi:[1,0,1]
	v_mul_f16_e32 v42, 0xb93d, v36
	v_add_f16_e32 v21, v24, v21
	v_pk_mul_f16 v24, 0xb93db08e, v38 op_sel_hi:[1,0]
	v_pk_add_f16 v25, v49, v25
	v_pk_mul_f16 v49, 0xb08ebbad, v40 op_sel_hi:[1,0]
	v_pk_fma_f16 v45, 0xb08eb93d, v37, v45 op_sel_hi:[1,0,1]
	v_pk_mul_f16 v50, 0xb8533b47, v31 op_sel_hi:[1,0]
	v_bfi_b32 v24, 0xffff, v34, v24
	v_bfi_b32 v34, 0xffff, v39, v46
	v_pk_mul_f16 v51, 0x3abb36a6, v36 op_sel_hi:[1,0]
	v_pk_add_f16 v35, v35, v8 op_sel:[0,1]
	v_pk_fma_f16 v32, 0xb93dbbad, v40, v32 op_sel_hi:[1,0,1]
	v_pk_mul_f16 v31, 0xb482bb47, v31 op_sel_hi:[1,0]
	v_pk_add_f16 v24, v24, v34 neg_lo:[0,1] neg_hi:[0,1]
	v_bfi_b32 v34, 0xffff, v41, v49
	v_bfi_b32 v26, 0xffff, v30, v26
	v_mul_f16_e32 v44, 0x36a6, v37
	v_pk_add_f16 v23, v45, v23
	v_pk_fma_f16 v45, 0x3abb36a6, v36, v50 op_sel_hi:[1,0,1]
	v_pk_mul_f16 v47, 0xb482b853, v28 op_sel_hi:[1,0]
	v_pk_mul_f16 v52, 0xbbad3abb, v37 op_sel_hi:[1,0]
	v_pk_add_f16 v32, v32, v35
	v_pk_fma_f16 v31, 0xbbad36a6, v36, v31 op_sel_hi:[1,0,1]
	v_pk_add_f16 v8, v24, v8 op_sel:[0,1]
	v_pk_add_f16 v24, v34, v26 neg_lo:[0,1] neg_hi:[0,1]
	v_bfi_b32 v26, 0xffff, v42, v51
	v_bfi_b32 v34, 0xffff, v43, v50
	v_pk_add_f16 v25, v45, v25
	v_pk_fma_f16 v45, 0xbbad3abb, v37, v47 op_sel_hi:[1,0,1]
	v_pk_mul_f16 v38, 0x36a6b93d, v33 op_sel_hi:[1,0]
	v_pk_mul_f16 v30, 0x3b47ba0c, v22 op_sel_hi:[1,0]
	v_pk_add_f16 v31, v31, v32
	v_pk_add_f16 v8, v24, v8
	v_pk_add_f16 v24, v26, v34 neg_lo:[0,1] neg_hi:[0,1]
	v_bfi_b32 v26, 0xffff, v44, v52
	v_bfi_b32 v29, 0xffff, v29, v47
	v_mul_f16_e32 v32, 0xb08e, v33
	v_mul_f16_e32 v34, 0xbbeb, v22
	v_pk_mul_f16 v28, 0xbbeb3853, v28 op_sel_hi:[1,0]
	v_pk_fma_f16 v48, 0x3abbbbad, v33, v48 op_sel_hi:[1,0,1]
	v_pk_add_f16 v25, v45, v25
	v_pk_fma_f16 v35, 0x36a6b93d, v33, v30 op_sel_hi:[1,0,1]
	v_pk_add_f16 v8, v24, v8
	v_pk_add_f16 v24, v26, v29 neg_lo:[0,1] neg_hi:[0,1]
	v_bfi_b32 v26, 0xffff, v32, v38
	v_bfi_b32 v29, 0xffff, v34, v30
	v_fmamk_f16 v30, v33, 0xb08e, v34
	v_pk_fma_f16 v28, 0xb08e3abb, v37, v28 op_sel_hi:[1,0,1]
	v_pk_mul_f16 v22, 0xb8533a0c, v22 op_sel_hi:[1,0]
	v_pk_add_f16 v32, v35, v25
	v_pk_add_f16 v8, v24, v8
	v_pk_add_f16 v24, v26, v29 neg_lo:[0,1] neg_hi:[0,1]
	v_add_f16_e32 v26, v30, v27
	v_pk_add_f16 v27, v48, v23
	v_pk_add_f16 v28, v28, v31
	v_pk_fma_f16 v29, 0x3abbb93d, v33, v22 op_sel_hi:[1,0,1]
	v_pk_add_f16 v25, v24, v8
	v_alignbit_b32 v24, v26, v32, 16
	v_alignbit_b32 v23, v32, v27, 16
	v_pack_b32_f16 v22, v6, v27
	v_pk_add_f16 v6, v29, v28
	s_waitcnt lgkmcnt(0)
	s_barrier
	buffer_gl0_inv
	ds_write_b128 v5, v[22:25]
	ds_write_b32 v5, v6 offset:16
	ds_write_b16 v5, v21 offset:20
	s_waitcnt lgkmcnt(0)
	s_barrier
	buffer_gl0_inv
	ds_read_u16 v22, v0 offset:2002
	ds_read_u16 v26, v0 offset:2310
	ds_read_u16 v8, v0
	ds_read_u16 v23, v0 offset:308
	ds_read_u16 v24, v0 offset:616
	;; [unrolled: 1-line block ×7, first 2 shown]
                                        ; implicit-def: $vgpr30
	s_and_saveexec_b32 s1, s0
	s_cbranch_execz .LBB0_17
; %bb.16:
	ds_read_u16 v21, v0 offset:1540
	ds_read_u16 v30, v0 offset:3234
.LBB0_17:
	s_or_b32 exec_lo, exec_lo, s1
	v_and_b32_e32 v5, 0xff, v7
	v_add_nc_u32_e32 v6, 0x9a, v7
	v_mov_b32_e32 v35, 0xba2f
	v_add_nc_u32_e32 v33, 0x134, v7
	v_add_nc_u32_e32 v34, 0x1ce, v7
	v_mul_lo_u16 v5, 0x75, v5
	v_add_nc_u32_e32 v36, 0x268, v7
	v_add_nc_u32_e32 v37, 0x302, v7
	v_mul_u32_u24_sdwa v39, v6, v35 dst_sel:DWORD dst_unused:UNUSED_PAD src0_sel:WORD_0 src1_sel:DWORD
	v_mul_u32_u24_sdwa v40, v33, v35 dst_sel:DWORD dst_unused:UNUSED_PAD src0_sel:WORD_0 src1_sel:DWORD
	v_lshrrev_b16 v5, 8, v5
	v_mul_u32_u24_sdwa v41, v34, v35 dst_sel:DWORD dst_unused:UNUSED_PAD src0_sel:WORD_0 src1_sel:DWORD
	v_mul_u32_u24_sdwa v42, v36, v35 dst_sel:DWORD dst_unused:UNUSED_PAD src0_sel:WORD_0 src1_sel:DWORD
	;; [unrolled: 1-line block ×3, first 2 shown]
	v_lshrrev_b32_e32 v39, 19, v39
	v_sub_nc_u16 v32, v7, v5
	v_lshrrev_b32_e32 v40, 19, v40
	v_lshrrev_b32_e32 v41, 19, v41
	;; [unrolled: 1-line block ×4, first 2 shown]
	v_lshrrev_b16 v32, 1, v32
	v_mul_lo_u16 v35, v40, 11
	v_mul_lo_u16 v43, v41, 11
	;; [unrolled: 1-line block ×3, first 2 shown]
	v_mov_b32_e32 v38, 2
	v_and_b32_e32 v32, 0x7f, v32
	v_mul_lo_u16 v47, v44, 11
	v_sub_nc_u16 v33, v33, v35
	v_sub_nc_u16 v50, v34, v43
	;; [unrolled: 1-line block ×3, first 2 shown]
	v_add_nc_u16 v5, v32, v5
	v_mul_lo_u16 v32, v39, 11
	v_lshlrev_b32_sdwa v36, v38, v33 dst_sel:DWORD dst_unused:UNUSED_PAD src0_sel:DWORD src1_sel:WORD_0
	v_mul_u32_u24_e32 v39, 44, v39
	v_mul_u32_u24_e32 v41, 44, v41
	v_lshrrev_b16 v5, 3, v5
	v_sub_nc_u16 v48, v6, v32
	v_sub_nc_u16 v32, v37, v47
	v_lshlrev_b32_sdwa v37, v38, v50 dst_sel:DWORD dst_unused:UNUSED_PAD src0_sel:DWORD src1_sel:WORD_0
	v_mul_u32_u24_e32 v51, 44, v42
	v_mul_lo_u16 v45, v5, 11
	v_lshlrev_b32_sdwa v34, v38, v48 dst_sel:DWORD dst_unused:UNUSED_PAD src0_sel:DWORD src1_sel:WORD_0
	v_lshlrev_b32_sdwa v47, v38, v32 dst_sel:DWORD dst_unused:UNUSED_PAD src0_sel:DWORD src1_sel:WORD_0
	v_mul_u32_u24_e32 v40, 44, v40
	v_sub_nc_u16 v49, v7, v45
	v_lshlrev_b32_sdwa v45, v38, v46 dst_sel:DWORD dst_unused:UNUSED_PAD src0_sel:DWORD src1_sel:WORD_0
	v_lshlrev_b32_sdwa v35, v38, v49 dst_sel:DWORD dst_unused:UNUSED_PAD src0_sel:DWORD src1_sel:BYTE_0
	s_clause 0x5
	global_load_dword v43, v35, s[8:9]
	global_load_dword v35, v34, s[8:9]
	global_load_dword v36, v36, s[8:9]
	global_load_dword v37, v37, s[8:9]
	global_load_dword v38, v45, s[8:9]
	global_load_dword v34, v47, s[8:9]
	v_mov_b32_e32 v47, 44
	v_mov_b32_e32 v45, 1
	s_waitcnt vmcnt(0) lgkmcnt(0)
	s_barrier
	buffer_gl0_inv
	v_mul_u32_u24_sdwa v5, v5, v47 dst_sel:DWORD dst_unused:UNUSED_PAD src0_sel:WORD_0 src1_sel:DWORD
	v_lshlrev_b32_sdwa v42, v45, v48 dst_sel:DWORD dst_unused:UNUSED_PAD src0_sel:DWORD src1_sel:WORD_0
	v_lshlrev_b32_sdwa v48, v45, v33 dst_sel:DWORD dst_unused:UNUSED_PAD src0_sel:DWORD src1_sel:WORD_0
	;; [unrolled: 1-line block ×3, first 2 shown]
	v_mul_lo_u16 v33, v44, 22
	v_lshlrev_b32_sdwa v44, v45, v46 dst_sel:DWORD dst_unused:UNUSED_PAD src0_sel:DWORD src1_sel:WORD_0
	v_lshlrev_b32_sdwa v46, v45, v49 dst_sel:DWORD dst_unused:UNUSED_PAD src0_sel:DWORD src1_sel:BYTE_0
	v_add3_u32 v42, 0, v39, v42
	v_add3_u32 v39, 0, v41, v50
	;; [unrolled: 1-line block ×5, first 2 shown]
	v_mul_f16_sdwa v5, v31, v43 dst_sel:DWORD dst_unused:UNUSED_PAD src0_sel:DWORD src1_sel:WORD_1
	v_mul_f16_sdwa v46, v22, v35 dst_sel:DWORD dst_unused:UNUSED_PAD src0_sel:DWORD src1_sel:WORD_1
	;; [unrolled: 1-line block ×6, first 2 shown]
	v_fma_f16 v5, v15, v43, -v5
	v_fma_f16 v46, v11, v35, -v46
	;; [unrolled: 1-line block ×6, first 2 shown]
	v_sub_f16_e32 v51, v16, v5
	v_sub_f16_e32 v46, v17, v46
	;; [unrolled: 1-line block ×6, first 2 shown]
	v_fma_f16 v16, v16, 2.0, -v51
	v_fma_f16 v17, v17, 2.0, -v46
	;; [unrolled: 1-line block ×5, first 2 shown]
	ds_write_b16 v44, v51 offset:22
	ds_write_b16 v44, v16
	ds_write_b16 v42, v17
	ds_write_b16 v42, v46 offset:22
	ds_write_b16 v40, v18
	ds_write_b16 v40, v47 offset:22
	ds_write_b16 v39, v19
	ds_write_b16 v39, v48 offset:22
	ds_write_b16 v41, v20
	ds_write_b16 v41, v49 offset:22
	s_and_saveexec_b32 s1, s0
	s_cbranch_execz .LBB0_19
; %bb.18:
	v_lshlrev_b32_sdwa v16, v45, v32 dst_sel:DWORD dst_unused:UNUSED_PAD src0_sel:DWORD src1_sel:WORD_0
	v_lshlrev_b32_sdwa v17, v45, v33 dst_sel:DWORD dst_unused:UNUSED_PAD src0_sel:DWORD src1_sel:WORD_0
	v_fma_f16 v9, v9, 2.0, -v5
	v_add3_u32 v16, 0, v16, v17
	ds_write_b16 v16, v9
	ds_write_b16 v16, v5 offset:22
.LBB0_19:
	s_or_b32 exec_lo, exec_lo, s1
	v_mul_f16_sdwa v9, v15, v43 dst_sel:DWORD dst_unused:UNUSED_PAD src0_sel:DWORD src1_sel:WORD_1
	v_mul_f16_sdwa v11, v11, v35 dst_sel:DWORD dst_unused:UNUSED_PAD src0_sel:DWORD src1_sel:WORD_1
	;; [unrolled: 1-line block ×5, first 2 shown]
	v_fmac_f16_e32 v9, v31, v43
	v_mul_f16_sdwa v13, v13, v34 dst_sel:DWORD dst_unused:UNUSED_PAD src0_sel:DWORD src1_sel:WORD_1
	v_fmac_f16_e32 v11, v22, v35
	v_fmac_f16_e32 v10, v26, v36
	;; [unrolled: 1-line block ×5, first 2 shown]
	v_sub_f16_e32 v15, v8, v9
	v_sub_f16_e32 v17, v23, v11
	;; [unrolled: 1-line block ×5, first 2 shown]
	s_waitcnt lgkmcnt(0)
	s_barrier
	buffer_gl0_inv
	v_lshl_add_u32 v14, v7, 1, 0
	ds_read_u16 v9, v0
	ds_read_u16 v26, v0 offset:308
	ds_read_u16 v22, v0 offset:616
	;; [unrolled: 1-line block ×10, first 2 shown]
	v_fma_f16 v34, v8, 2.0, -v15
	v_sub_f16_e32 v8, v21, v13
	v_fma_f16 v23, v23, 2.0, -v17
	v_fma_f16 v24, v24, 2.0, -v29
	v_fma_f16 v25, v25, 2.0, -v30
	v_fma_f16 v28, v28, 2.0, -v31
	s_waitcnt lgkmcnt(0)
	s_barrier
	buffer_gl0_inv
	ds_write_b16 v44, v34
	ds_write_b16 v44, v15 offset:22
	ds_write_b16 v42, v23
	ds_write_b16 v42, v17 offset:22
	;; [unrolled: 2-line block ×5, first 2 shown]
	s_and_saveexec_b32 s1, s0
	s_cbranch_execz .LBB0_21
; %bb.20:
	v_mov_b32_e32 v13, 1
	v_fma_f16 v17, v21, 2.0, -v8
	v_lshlrev_b32_sdwa v15, v13, v32 dst_sel:DWORD dst_unused:UNUSED_PAD src0_sel:DWORD src1_sel:WORD_0
	v_lshlrev_b32_sdwa v13, v13, v33 dst_sel:DWORD dst_unused:UNUSED_PAD src0_sel:DWORD src1_sel:WORD_0
	v_add3_u32 v13, 0, v15, v13
	ds_write_b16 v13, v17
	ds_write_b16 v13, v8 offset:22
.LBB0_21:
	s_or_b32 exec_lo, exec_lo, s1
	v_lshrrev_b16 v13, 1, v7
	v_mov_b32_e32 v17, 10
	s_waitcnt lgkmcnt(0)
	s_barrier
	buffer_gl0_inv
	v_and_b32_e32 v13, 0x7f, v13
	v_mov_b32_e32 v28, 1
	v_cmp_gt_u32_e64 s0, 0x58, v7
	v_mul_lo_u16 v13, 0xbb, v13
	v_lshrrev_b16 v15, 11, v13
	v_mul_lo_u16 v13, v15, 22
	v_sub_nc_u16 v21, v7, v13
	v_mul_u32_u24_sdwa v13, v21, v17 dst_sel:DWORD dst_unused:UNUSED_PAD src0_sel:BYTE_0 src1_sel:DWORD
	v_mov_b32_e32 v17, 0x1e4
	v_lshlrev_b32_e32 v13, 2, v13
	s_clause 0x2
	global_load_dwordx4 v[41:44], v13, s[8:9] offset:44
	global_load_dwordx4 v[45:48], v13, s[8:9] offset:60
	global_load_dwordx2 v[23:24], v13, s[8:9] offset:76
	ds_read_u16 v25, v0 offset:308
	ds_read_u16 v36, v0 offset:616
	;; [unrolled: 1-line block ×4, first 2 shown]
	ds_read_u16 v13, v0
	ds_read_u16 v50, v14 offset:1540
	v_mul_u32_u24_sdwa v14, v15, v17 dst_sel:DWORD dst_unused:UNUSED_PAD src0_sel:WORD_0 src1_sel:DWORD
	ds_read_u16 v51, v0 offset:1848
	v_lshlrev_b32_sdwa v15, v28, v21 dst_sel:DWORD dst_unused:UNUSED_PAD src0_sel:DWORD src1_sel:BYTE_0
	ds_read_u16 v21, v0 offset:2156
	ds_read_u16 v52, v0 offset:2464
	;; [unrolled: 1-line block ×4, first 2 shown]
	s_waitcnt vmcnt(0) lgkmcnt(0)
	s_barrier
	buffer_gl0_inv
	v_add3_u32 v17, 0, v14, v15
	v_mul_f16_sdwa v37, v25, v41 dst_sel:DWORD dst_unused:UNUSED_PAD src0_sel:DWORD src1_sel:WORD_1
	v_mul_f16_sdwa v35, v26, v41 dst_sel:DWORD dst_unused:UNUSED_PAD src0_sel:DWORD src1_sel:WORD_1
	;; [unrolled: 1-line block ×6, first 2 shown]
	v_fma_f16 v40, v26, v41, -v37
	v_mul_f16_sdwa v34, v22, v42 dst_sel:DWORD dst_unused:UNUSED_PAD src0_sel:DWORD src1_sel:WORD_1
	v_mul_f16_sdwa v55, v39, v43 dst_sel:DWORD dst_unused:UNUSED_PAD src0_sel:DWORD src1_sel:WORD_1
	;; [unrolled: 1-line block ×11, first 2 shown]
	v_fmac_f16_e32 v35, v25, v41
	v_fma_f16 v38, v22, v42, -v38
	v_fma_f16 v41, v16, v24, -v62
	v_fmac_f16_e32 v28, v54, v24
	v_fma_f16 v16, v10, v23, -v61
	v_add_f16_e32 v10, v9, v40
	v_mul_f16_sdwa v56, v49, v44 dst_sel:DWORD dst_unused:UNUSED_PAD src0_sel:DWORD src1_sel:WORD_1
	v_mul_f16_sdwa v58, v51, v46 dst_sel:DWORD dst_unused:UNUSED_PAD src0_sel:DWORD src1_sel:WORD_1
	;; [unrolled: 1-line block ×3, first 2 shown]
	v_fmac_f16_e32 v34, v36, v42
	v_fma_f16 v37, v20, v43, -v55
	v_fmac_f16_e32 v33, v39, v43
	v_fmac_f16_e32 v32, v49, v44
	v_fma_f16 v26, v27, v45, -v57
	v_fmac_f16_e32 v14, v50, v45
	v_fmac_f16_e32 v15, v51, v46
	v_fma_f16 v27, v12, v47, -v59
	v_fmac_f16_e32 v31, v21, v47
	v_fmac_f16_e32 v30, v52, v48
	v_fmac_f16_e32 v29, v53, v23
	v_sub_f16_e32 v12, v35, v28
	v_add_f16_e32 v10, v10, v38
	v_fma_f16 v36, v19, v44, -v56
	v_fma_f16 v18, v18, v46, -v58
	;; [unrolled: 1-line block ×3, first 2 shown]
	v_add_f16_e32 v11, v40, v41
	v_sub_f16_e32 v20, v34, v29
	v_sub_f16_e32 v22, v33, v30
	;; [unrolled: 1-line block ×4, first 2 shown]
	v_mul_f16_e32 v43, 0xb482, v12
	v_pk_mul_f16 v47, 0xb853bb47, v12 op_sel_hi:[1,0]
	v_pk_mul_f16 v12, 0xbbebba0c, v12 op_sel_hi:[1,0]
	v_add_f16_e32 v10, v10, v37
	v_add_f16_e32 v19, v38, v16
	;; [unrolled: 1-line block ×5, first 2 shown]
	v_mul_f16_e32 v44, 0x3853, v20
	v_mul_f16_e32 v45, 0xba0c, v22
	;; [unrolled: 1-line block ×3, first 2 shown]
	v_pk_mul_f16 v48, 0xbb47ba0c, v20 op_sel_hi:[1,0]
	v_pk_mul_f16 v49, 0xbbeb3482, v22 op_sel_hi:[1,0]
	v_pk_mul_f16 v50, 0xba0c3beb, v24 op_sel_hi:[1,0]
	v_pk_mul_f16 v51, 0xb4823853, v42 op_sel_hi:[1,0]
	v_pk_mul_f16 v20, 0x34823beb, v20 op_sel_hi:[1,0]
	v_pk_mul_f16 v22, 0x3b47b853, v22 op_sel_hi:[1,0]
	v_pk_mul_f16 v24, 0xb853b482, v24 op_sel_hi:[1,0]
	v_pk_mul_f16 v52, 0xba0c3b47, v42 op_sel_hi:[1,0]
	v_mul_f16_e32 v42, 0xbbeb, v42
	v_fma_f16 v53, v11, 0xbbad, -v43
	v_fmac_f16_e32 v43, 0xbbad, v11
	v_pk_fma_f16 v57, 0x3abb36a6, v11, v47 op_sel_hi:[1,0,1] neg_lo:[0,0,1] neg_hi:[0,0,1]
	v_pk_fma_f16 v47, 0x3abb36a6, v11, v47 op_sel_hi:[1,0,1]
	v_pk_fma_f16 v62, 0xb08eb93d, v11, v12 op_sel_hi:[1,0,1] neg_lo:[0,0,1] neg_hi:[0,0,1]
	v_add_f16_e32 v10, v10, v36
	v_pk_fma_f16 v11, 0xb08eb93d, v11, v12 op_sel_hi:[1,0,1]
	v_fma_f16 v54, v19, 0x3abb, -v44
	v_fmac_f16_e32 v44, 0x3abb, v19
	v_fma_f16 v55, v21, 0xb93d, -v45
	v_fmac_f16_e32 v45, 0xb93d, v21
	;; [unrolled: 2-line block ×3, first 2 shown]
	v_pk_fma_f16 v58, 0x36a6b93d, v19, v48 op_sel_hi:[1,0,1] neg_lo:[0,0,1] neg_hi:[0,0,1]
	v_pk_fma_f16 v48, 0x36a6b93d, v19, v48 op_sel_hi:[1,0,1]
	v_pk_fma_f16 v59, 0xb08ebbad, v21, v49 op_sel_hi:[1,0,1] neg_lo:[0,0,1] neg_hi:[0,0,1]
	v_pk_fma_f16 v49, 0xb08ebbad, v21, v49 op_sel_hi:[1,0,1]
	;; [unrolled: 2-line block ×8, first 2 shown]
	v_fma_f16 v63, v25, 0xb08e, -v42
	v_fmac_f16_e32 v42, 0xb08e, v25
	v_add_f16_e32 v25, v9, v53
	v_add_f16_e32 v43, v9, v43
	v_add_f16_sdwa v53, v9, v57 dst_sel:DWORD dst_unused:UNUSED_PAD src0_sel:DWORD src1_sel:WORD_1
	v_add_f16_e32 v57, v9, v57
	v_pk_add_f16 v47, v9, v47 op_sel_hi:[0,1]
	v_add_f16_sdwa v64, v9, v62 dst_sel:DWORD dst_unused:UNUSED_PAD src0_sel:DWORD src1_sel:WORD_1
	v_add_f16_e32 v62, v9, v62
	v_add_f16_e32 v10, v10, v26
	v_pk_add_f16 v9, v9, v11 op_sel_hi:[0,1]
	v_add_f16_e32 v11, v54, v25
	v_add_f16_e32 v25, v44, v43
	v_add_f16_sdwa v43, v58, v53 dst_sel:DWORD dst_unused:UNUSED_PAD src0_sel:WORD_1 src1_sel:DWORD
	v_add_f16_e32 v44, v58, v57
	v_pk_add_f16 v47, v48, v47
	v_add_f16_sdwa v48, v12, v64 dst_sel:DWORD dst_unused:UNUSED_PAD src0_sel:WORD_1 src1_sel:DWORD
	v_add_f16_e32 v12, v12, v62
	v_add_f16_e32 v10, v10, v18
	v_pk_add_f16 v9, v19, v9
	v_add_f16_e32 v19, v45, v25
	v_add_f16_sdwa v25, v59, v43 dst_sel:DWORD dst_unused:UNUSED_PAD src0_sel:WORD_1 src1_sel:DWORD
	v_add_f16_e32 v43, v59, v44
	v_add_f16_sdwa v45, v20, v48 dst_sel:DWORD dst_unused:UNUSED_PAD src0_sel:WORD_1 src1_sel:DWORD
	v_add_f16_e32 v12, v20, v12
	v_add_f16_e32 v10, v10, v27
	v_pk_add_f16 v9, v21, v9
	v_pk_add_f16 v44, v49, v47
	v_add_f16_e32 v11, v55, v11
	v_add_f16_sdwa v20, v60, v25 dst_sel:DWORD dst_unused:UNUSED_PAD src0_sel:WORD_1 src1_sel:DWORD
	v_add_f16_e32 v21, v60, v43
	v_add_f16_sdwa v43, v22, v45 dst_sel:DWORD dst_unused:UNUSED_PAD src0_sel:WORD_1 src1_sel:DWORD
	v_add_f16_e32 v12, v22, v12
	v_add_f16_e32 v22, v10, v39
	v_pk_add_f16 v9, v23, v9
	v_pk_add_f16 v25, v50, v44
	v_add_f16_e32 v11, v56, v11
	v_add_f16_e32 v19, v46, v19
	v_add_f16_sdwa v20, v61, v20 dst_sel:DWORD dst_unused:UNUSED_PAD src0_sel:WORD_1 src1_sel:DWORD
	v_add_f16_e32 v22, v22, v16
	v_add_f16_e32 v21, v61, v21
	v_pk_add_f16 v9, v52, v9
	v_add_f16_sdwa v23, v24, v43 dst_sel:DWORD dst_unused:UNUSED_PAD src0_sel:WORD_1 src1_sel:DWORD
	v_pk_add_f16 v10, v51, v25
	v_add_f16_e32 v12, v24, v12
	v_add_f16_e32 v11, v63, v11
	;; [unrolled: 1-line block ×3, first 2 shown]
	ds_write_b16 v17, v20 offset:44
	ds_write_b16 v17, v21 offset:88
	;; [unrolled: 1-line block ×6, first 2 shown]
	v_add_f16_e32 v11, v22, v41
	ds_write_b16 v17, v9 offset:308
	ds_write_b16_d16_hi v17, v9 offset:352
	ds_write_b16 v17, v10 offset:396
	ds_write_b16_d16_hi v17, v10 offset:440
	ds_write_b16 v17, v11
	s_waitcnt lgkmcnt(0)
	s_barrier
	buffer_gl0_inv
	ds_read_u16 v19, v0
	ds_read_u16 v23, v0 offset:484
	ds_read_u16 v20, v0 offset:968
	;; [unrolled: 1-line block ×6, first 2 shown]
                                        ; implicit-def: $vgpr11
                                        ; implicit-def: $vgpr12
	s_and_saveexec_b32 s1, s0
	s_cbranch_execz .LBB0_23
; %bb.22:
	ds_read_u16 v9, v0 offset:308
	ds_read_u16 v10, v0 offset:1276
	;; [unrolled: 1-line block ×4, first 2 shown]
	s_waitcnt lgkmcnt(3)
	ds_read_u16_d16_hi v9, v0 offset:792
	s_waitcnt lgkmcnt(3)
	ds_read_u16_d16_hi v10, v0 offset:1760
	ds_read_u16 v12, v0 offset:2728
.LBB0_23:
	s_or_b32 exec_lo, exec_lo, s1
	v_add_f16_e32 v42, v13, v35
	v_sub_f16_e32 v40, v40, v41
	v_add_f16_e32 v41, v34, v29
	v_sub_f16_e32 v16, v38, v16
	v_add_f16_e32 v38, v33, v30
	v_add_f16_e32 v34, v42, v34
	v_sub_f16_e32 v37, v37, v39
	v_add_f16_e32 v39, v32, v31
	v_add_f16_e32 v35, v35, v28
	v_sub_f16_e32 v27, v36, v27
	v_add_f16_e32 v33, v34, v33
	v_mul_f16_e32 v34, 0xb482, v40
	v_mul_f16_e32 v36, 0x3853, v16
	;; [unrolled: 1-line block ×4, first 2 shown]
	v_add_f16_e32 v32, v33, v32
	v_fmamk_f16 v46, v35, 0xbbad, v34
	v_pk_mul_f16 v33, 0xbbebb853, v40 op_sel_hi:[1,0]
	v_fma_f16 v34, v35, 0xbbad, -v34
	v_fmamk_f16 v47, v41, 0x3abb, v36
	v_add_f16_e32 v32, v32, v14
	v_add_f16_e32 v46, v13, v46
	v_pk_mul_f16 v44, 0x3482bb47, v16 op_sel_hi:[1,0]
	v_fma_f16 v36, v41, 0x3abb, -v36
	v_fmamk_f16 v48, v38, 0xb93d, v42
	v_add_f16_e32 v32, v32, v15
	v_add_f16_e32 v34, v13, v34
	v_add_f16_e32 v46, v47, v46
	v_pk_mul_f16 v45, 0x3b47bbeb, v37 op_sel_hi:[1,0]
	v_fma_f16 v42, v38, 0xb93d, -v42
	v_add_f16_e32 v31, v32, v31
	v_pk_fma_f16 v32, 0xb08e3abb, v35, v33 op_sel_hi:[1,0,1]
	v_fmamk_f16 v49, v39, 0x36a6, v43
	v_pk_fma_f16 v33, 0xb08e3abb, v35, v33 op_sel_hi:[1,0,1] neg_lo:[0,0,1] neg_hi:[0,0,1]
	v_add_f16_e32 v34, v36, v34
	v_add_f16_e32 v30, v31, v30
	v_pk_fma_f16 v31, 0xbbad36a6, v41, v44 op_sel_hi:[1,0,1]
	v_add_f16_e32 v47, v13, v32
	v_add_f16_e32 v36, v48, v46
	v_sub_f16_e32 v18, v26, v18
	v_add_f16_e32 v29, v30, v29
	v_add_f16_sdwa v30, v13, v32 dst_sel:DWORD dst_unused:UNUSED_PAD src0_sel:DWORD src1_sel:WORD_1
	v_pk_add_f16 v32, v13, v33 op_sel_hi:[0,1]
	v_add_f16_e32 v33, v42, v34
	v_add_f16_e32 v34, v49, v36
	;; [unrolled: 1-line block ×4, first 2 shown]
	v_pk_fma_f16 v36, 0xbbad36a6, v41, v44 op_sel_hi:[1,0,1] neg_lo:[0,0,1] neg_hi:[0,0,1]
	v_pk_fma_f16 v42, 0x36a6b08e, v38, v45 op_sel_hi:[1,0,1]
	v_pk_mul_f16 v26, 0xb853ba0c, v27 op_sel_hi:[1,0]
	v_add_f16_sdwa v30, v31, v30 dst_sel:DWORD dst_unused:UNUSED_PAD src0_sel:WORD_1 src1_sel:DWORD
	v_add_f16_e32 v15, v14, v15
	v_pk_add_f16 v31, v36, v32
	v_add_f16_e32 v29, v42, v29
	v_pk_fma_f16 v32, 0x36a6b08e, v38, v45 op_sel_hi:[1,0,1] neg_lo:[0,0,1] neg_hi:[0,0,1]
	v_pk_fma_f16 v36, 0x3abbb93d, v39, v26 op_sel_hi:[1,0,1]
	v_pk_mul_f16 v14, 0xba0cb482, v18 op_sel_hi:[1,0]
	v_add_f16_sdwa v30, v42, v30 dst_sel:DWORD dst_unused:UNUSED_PAD src0_sel:WORD_1 src1_sel:DWORD
	v_pk_fma_f16 v26, 0x3abbb93d, v39, v26 op_sel_hi:[1,0,1] neg_lo:[0,0,1] neg_hi:[0,0,1]
	v_pk_add_f16 v31, v32, v31
	v_add_f16_e32 v29, v36, v29
	v_pk_fma_f16 v32, 0xb93dbbad, v15, v14 op_sel_hi:[1,0,1]
	v_pk_mul_f16 v40, 0xbb47ba0c, v40 op_sel_hi:[1,0]
	v_add_f16_sdwa v30, v36, v30 dst_sel:DWORD dst_unused:UNUSED_PAD src0_sel:WORD_1 src1_sel:DWORD
	v_pk_add_f16 v26, v26, v31
	v_pk_mul_f16 v16, 0xba0c3beb, v16 op_sel_hi:[1,0]
	v_add_f16_e32 v29, v32, v29
	v_pk_fma_f16 v31, 0x36a6b93d, v35, v40 op_sel_hi:[1,0,1]
	v_add_f16_sdwa v30, v32, v30 dst_sel:DWORD dst_unused:UNUSED_PAD src0_sel:WORD_1 src1_sel:DWORD
	v_pk_fma_f16 v32, 0x36a6b93d, v35, v40 op_sel_hi:[1,0,1] neg_lo:[0,0,1] neg_hi:[0,0,1]
	v_pk_fma_f16 v36, 0xb93db08e, v41, v16 op_sel_hi:[1,0,1]
	v_pk_mul_f16 v37, 0x3482b853, v37 op_sel_hi:[1,0]
	v_add_f16_sdwa v35, v13, v31 dst_sel:DWORD dst_unused:UNUSED_PAD src0_sel:DWORD src1_sel:WORD_1
	v_add_f16_e32 v31, v13, v31
	v_pk_add_f16 v13, v13, v32 op_sel_hi:[0,1]
	v_pk_fma_f16 v16, 0xb93db08e, v41, v16 op_sel_hi:[1,0,1] neg_lo:[0,0,1] neg_hi:[0,0,1]
	v_pk_fma_f16 v14, 0xb93dbbad, v15, v14 op_sel_hi:[1,0,1] neg_lo:[0,0,1] neg_hi:[0,0,1]
	v_add_f16_sdwa v32, v36, v35 dst_sel:DWORD dst_unused:UNUSED_PAD src0_sel:WORD_1 src1_sel:DWORD
	v_add_f16_e32 v31, v36, v31
	v_pk_fma_f16 v35, 0xbbad3abb, v38, v37 op_sel_hi:[1,0,1]
	v_pk_mul_f16 v27, 0x3bebb482, v27 op_sel_hi:[1,0]
	v_pk_add_f16 v13, v16, v13
	v_pk_fma_f16 v16, 0xbbad3abb, v38, v37 op_sel_hi:[1,0,1] neg_lo:[0,0,1] neg_hi:[0,0,1]
	v_pk_add_f16 v14, v14, v26
	v_add_f16_sdwa v26, v35, v32 dst_sel:DWORD dst_unused:UNUSED_PAD src0_sel:WORD_1 src1_sel:DWORD
	v_pk_fma_f16 v32, 0xb08ebbad, v39, v27 op_sel_hi:[1,0,1]
	v_add_f16_e32 v31, v35, v31
	v_pk_add_f16 v13, v16, v13
	v_pk_mul_f16 v16, 0x38533b47, v18 op_sel_hi:[1,0]
	v_pk_fma_f16 v27, 0xb08ebbad, v39, v27 op_sel_hi:[1,0,1] neg_lo:[0,0,1] neg_hi:[0,0,1]
	v_mul_f16_e32 v18, 0xbbeb, v18
	v_fma_f16 v43, v39, 0x36a6, -v43
	v_add_f16_sdwa v26, v32, v26 dst_sel:DWORD dst_unused:UNUSED_PAD src0_sel:WORD_1 src1_sel:DWORD
	v_add_f16_e32 v31, v32, v31
	v_pk_fma_f16 v32, 0x3abb36a6, v15, v16 op_sel_hi:[1,0,1]
	v_pk_add_f16 v13, v27, v13
	v_pk_fma_f16 v16, 0x3abb36a6, v15, v16 op_sel_hi:[1,0,1] neg_lo:[0,0,1] neg_hi:[0,0,1]
	v_fmamk_f16 v27, v15, 0xb08e, v18
	v_add_f16_e32 v33, v43, v33
	v_fma_f16 v15, v15, 0xb08e, -v18
	v_add_f16_sdwa v18, v32, v26 dst_sel:DWORD dst_unused:UNUSED_PAD src0_sel:WORD_1 src1_sel:DWORD
	v_pk_add_f16 v13, v16, v13
	v_add_f16_e32 v27, v27, v34
	v_add_f16_e32 v26, v32, v31
	;; [unrolled: 1-line block ×3, first 2 shown]
	v_lshrrev_b32_e32 v15, 16, v14
	v_lshrrev_b32_e32 v16, 16, v13
	s_waitcnt lgkmcnt(0)
	s_barrier
	buffer_gl0_inv
	ds_write_b16 v17, v28
	ds_write_b16 v17, v29 offset:44
	ds_write_b16 v17, v18 offset:88
	ds_write_b16 v17, v30 offset:132
	ds_write_b16 v17, v26 offset:176
	ds_write_b16 v17, v27 offset:220
	ds_write_b16 v17, v31 offset:264
	ds_write_b16 v17, v13 offset:308
	ds_write_b16 v17, v15 offset:352
	ds_write_b16 v17, v16 offset:396
	ds_write_b16 v17, v14 offset:440
	s_waitcnt lgkmcnt(0)
	s_barrier
	buffer_gl0_inv
	ds_read_u16 v26, v0
	ds_read_u16 v28, v0 offset:484
	ds_read_u16 v27, v0 offset:968
	;; [unrolled: 1-line block ×6, first 2 shown]
                                        ; implicit-def: $vgpr18
                                        ; implicit-def: $vgpr17
	s_and_saveexec_b32 s1, s0
	s_cbranch_execz .LBB0_25
; %bb.24:
	ds_read_u16 v13, v0 offset:308
	ds_read_u16 v15, v0 offset:792
	;; [unrolled: 1-line block ×7, first 2 shown]
.LBB0_25:
	s_or_b32 exec_lo, exec_lo, s1
	s_and_saveexec_b32 s1, vcc_lo
	s_cbranch_execz .LBB0_28
; %bb.26:
	v_mul_u32_u24_e32 v0, 6, v7
	v_mul_lo_u32 v39, s3, v3
	v_mul_lo_u32 v40, s2, v4
	v_mad_u64_u32 v[3:4], null, s2, v3, 0
	v_lshlrev_b32_e32 v0, 2, v0
	s_clause 0x1
	global_load_dwordx4 v[33:36], v0, s[8:9] offset:924
	global_load_dwordx2 v[37:38], v0, s[8:9] offset:940
	v_lshrrev_b32_e32 v0, 1, v7
	v_add3_u32 v4, v4, v40, v39
	v_mul_hi_u32 v0, 0x43b3d5b, v0
	v_lshlrev_b64 v[3:4], 2, v[3:4]
	v_add_co_u32 v3, vcc_lo, s14, v3
	v_lshrrev_b32_e32 v0, 1, v0
	v_add_co_ci_u32_e32 v4, vcc_lo, s15, v4, vcc_lo
	v_mul_lo_u32 v39, 0xf2, v0
	v_lshlrev_b64 v[0:1], 2, v[1:2]
	v_sub_nc_u32_e32 v2, v7, v39
	v_lshlrev_b32_e32 v39, 2, v2
	v_add_co_u32 v2, vcc_lo, v3, v0
	v_add_co_ci_u32_e32 v3, vcc_lo, v4, v1, vcc_lo
	v_add_nc_u32_e32 v0, 0x9a, v7
	v_add_co_u32 v39, vcc_lo, v2, v39
	v_add_co_ci_u32_e32 v40, vcc_lo, 0, v3, vcc_lo
	v_cmp_gt_u32_e32 vcc_lo, 0xf2, v0
	v_add_co_u32 v41, s1, 0x800, v39
	v_add_co_ci_u32_e64 v42, s1, 0, v40, s1
	v_add_co_u32 v43, s1, 0x1000, v39
	v_add_co_ci_u32_e64 v44, s1, 0, v40, s1
	s_waitcnt vmcnt(1) lgkmcnt(5)
	v_mul_f16_sdwa v1, v28, v33 dst_sel:DWORD dst_unused:UNUSED_PAD src0_sel:DWORD src1_sel:WORD_1
	s_waitcnt vmcnt(0) lgkmcnt(0)
	v_mul_f16_sdwa v4, v32, v38 dst_sel:DWORD dst_unused:UNUSED_PAD src0_sel:DWORD src1_sel:WORD_1
	v_mul_f16_sdwa v47, v27, v34 dst_sel:DWORD dst_unused:UNUSED_PAD src0_sel:DWORD src1_sel:WORD_1
	;; [unrolled: 1-line block ×11, first 2 shown]
	v_fma_f16 v1, v23, v33, -v1
	v_fma_f16 v4, v25, v38, -v4
	v_fma_f16 v20, v20, v34, -v47
	v_fma_f16 v22, v22, v37, -v48
	v_fmac_f16_e32 v49, v32, v38
	v_fmac_f16_e32 v50, v28, v33
	;; [unrolled: 1-line block ×4, first 2 shown]
	v_fma_f16 v23, v24, v36, -v45
	v_fma_f16 v21, v21, v35, -v46
	v_fmac_f16_e32 v51, v29, v35
	v_fmac_f16_e32 v52, v30, v36
	v_sub_f16_e32 v24, v1, v4
	v_sub_f16_e32 v27, v20, v22
	v_add_f16_e32 v28, v50, v49
	v_add_f16_e32 v30, v54, v53
	;; [unrolled: 1-line block ×4, first 2 shown]
	v_sub_f16_e32 v25, v23, v21
	v_add_f16_e32 v29, v52, v51
	v_add_f16_e32 v4, v23, v21
	v_sub_f16_e32 v21, v50, v49
	v_sub_f16_e32 v22, v52, v51
	;; [unrolled: 1-line block ×3, first 2 shown]
	v_add_f16_e32 v35, v28, v30
	v_add_f16_e32 v38, v1, v20
	v_sub_f16_e32 v31, v24, v25
	v_sub_f16_e32 v32, v25, v27
	v_add_f16_e32 v25, v25, v27
	v_sub_f16_e32 v33, v28, v29
	v_sub_f16_e32 v34, v29, v30
	;; [unrolled: 1-line block ×6, first 2 shown]
	v_add_f16_e32 v22, v22, v23
	v_sub_f16_e32 v27, v27, v24
	v_sub_f16_e32 v1, v20, v1
	;; [unrolled: 1-line block ×3, first 2 shown]
	v_add_f16_e32 v29, v29, v35
	v_add_f16_e32 v4, v4, v38
	v_sub_f16_e32 v28, v30, v28
	v_mul_f16_e32 v23, 0xb846, v32
	v_mul_f16_e32 v30, 0x2b26, v34
	;; [unrolled: 1-line block ×5, first 2 shown]
	v_add_f16_e32 v21, v21, v22
	v_mul_f16_e32 v22, 0x3b00, v27
	v_mul_f16_e32 v37, 0x3b00, v20
	v_add_f16_e32 v26, v26, v29
	v_add_f16_e32 v19, v19, v4
	;; [unrolled: 1-line block ×3, first 2 shown]
	v_mul_f16_e32 v25, 0x3a52, v33
	v_fmamk_f16 v38, v31, 0x3574, v23
	v_fmamk_f16 v33, v33, 0x3a52, v30
	;; [unrolled: 1-line block ×4, first 2 shown]
	v_fma_f16 v22, v31, 0xb574, -v22
	v_fma_f16 v31, v1, 0xb9e0, -v32
	;; [unrolled: 1-line block ×5, first 2 shown]
	v_fmamk_f16 v27, v29, 0xbcab, v26
	v_fmamk_f16 v4, v4, 0xbcab, v19
	v_fma_f16 v25, v28, 0xb9e0, -v25
	v_fma_f16 v28, v28, 0x39e0, -v30
	;; [unrolled: 1-line block ×3, first 2 shown]
	v_fmac_f16_e32 v38, 0x370e, v24
	v_fmac_f16_e32 v46, 0x370e, v21
	;; [unrolled: 1-line block ×6, first 2 shown]
	v_pack_b32_f16 v19, v19, v26
	v_add_f16_e32 v21, v33, v27
	v_add_f16_e32 v24, v36, v4
	;; [unrolled: 1-line block ×6, first 2 shown]
	global_store_dword v[39:40], v19, off
	v_add_f16_e32 v4, v38, v21
	v_sub_f16_e32 v19, v24, v46
	v_sub_f16_e32 v21, v21, v38
	v_add_f16_e32 v24, v46, v24
	v_add_f16_e32 v28, v22, v25
	v_sub_f16_e32 v22, v25, v22
	v_add_f16_e32 v25, v32, v26
	v_sub_f16_e32 v29, v27, v23
	;; [unrolled: 2-line block ×4, first 2 shown]
	v_pack_b32_f16 v21, v24, v21
	v_pack_b32_f16 v22, v25, v22
	;; [unrolled: 1-line block ×6, first 2 shown]
	global_store_dword v[39:40], v21, off offset:968
	global_store_dword v[39:40], v22, off offset:1936
	;; [unrolled: 1-line block ×6, first 2 shown]
	s_and_b32 exec_lo, exec_lo, vcc_lo
	s_cbranch_execz .LBB0_28
; %bb.27:
	v_add_nc_u32_e32 v1, 0xffffffa8, v7
	v_mov_b32_e32 v24, 0
	v_lshrrev_b32_e32 v4, 16, v9
	v_lshrrev_b32_e32 v37, 16, v10
	v_cndmask_b32_e64 v1, v1, v6, s0
	v_mul_i32_i24_e32 v23, 6, v1
	v_mov_b32_e32 v1, v24
	v_lshlrev_b64 v[19:20], 2, v[23:24]
	v_add_nc_u32_e32 v23, 0x18c, v7
	v_lshlrev_b64 v[0:1], 2, v[0:1]
	v_lshlrev_b64 v[27:28], 2, v[23:24]
	v_add_co_u32 v25, vcc_lo, s8, v19
	v_add_co_ci_u32_e32 v26, vcc_lo, s9, v20, vcc_lo
	v_add_nc_u32_e32 v23, 0x27e, v7
	v_add_co_u32 v0, vcc_lo, v2, v0
	s_clause 0x1
	global_load_dwordx4 v[19:22], v[25:26], off offset:924
	global_load_dwordx2 v[25:26], v[25:26], off offset:940
	v_add_co_ci_u32_e32 v1, vcc_lo, v3, v1, vcc_lo
	v_lshlrev_b64 v[29:30], 2, v[23:24]
	v_add_nc_u32_e32 v23, 0x370, v7
	v_add_co_u32 v27, vcc_lo, v2, v27
	v_add_co_ci_u32_e32 v28, vcc_lo, v3, v28, vcc_lo
	v_lshlrev_b64 v[31:32], 2, v[23:24]
	v_add_nc_u32_e32 v23, 0x462, v7
	v_add_co_u32 v29, vcc_lo, v2, v29
	;; [unrolled: 4-line block ×4, first 2 shown]
	v_add_co_ci_u32_e32 v7, vcc_lo, v3, v34, vcc_lo
	v_lshlrev_b64 v[23:24], 2, v[23:24]
	v_add_co_u32 v33, vcc_lo, v2, v35
	v_add_co_ci_u32_e32 v34, vcc_lo, v3, v36, vcc_lo
	v_add_co_u32 v2, vcc_lo, v2, v23
	v_add_co_ci_u32_e32 v3, vcc_lo, v3, v24, vcc_lo
	s_waitcnt vmcnt(1)
	v_mul_f16_sdwa v23, v15, v19 dst_sel:DWORD dst_unused:UNUSED_PAD src0_sel:DWORD src1_sel:WORD_1
	v_mul_f16_sdwa v24, v4, v19 dst_sel:DWORD dst_unused:UNUSED_PAD src0_sel:DWORD src1_sel:WORD_1
	;; [unrolled: 1-line block ×5, first 2 shown]
	s_waitcnt vmcnt(0)
	v_mul_f16_sdwa v42, v17, v25 dst_sel:DWORD dst_unused:UNUSED_PAD src0_sel:DWORD src1_sel:WORD_1
	v_mul_f16_sdwa v43, v12, v25 dst_sel:DWORD dst_unused:UNUSED_PAD src0_sel:DWORD src1_sel:WORD_1
	v_mul_f16_sdwa v44, v18, v26 dst_sel:DWORD dst_unused:UNUSED_PAD src0_sel:DWORD src1_sel:WORD_1
	v_mul_f16_sdwa v45, v11, v26 dst_sel:DWORD dst_unused:UNUSED_PAD src0_sel:DWORD src1_sel:WORD_1
	v_mul_f16_sdwa v38, v14, v21 dst_sel:DWORD dst_unused:UNUSED_PAD src0_sel:DWORD src1_sel:WORD_1
	v_mul_f16_sdwa v39, v37, v21 dst_sel:DWORD dst_unused:UNUSED_PAD src0_sel:DWORD src1_sel:WORD_1
	v_mul_f16_sdwa v40, v8, v22 dst_sel:DWORD dst_unused:UNUSED_PAD src0_sel:DWORD src1_sel:WORD_1
	v_fma_f16 v4, v4, v19, -v23
	v_fmac_f16_e32 v24, v15, v19
	v_fma_f16 v10, v10, v20, -v35
	v_fmac_f16_e32 v36, v16, v20
	;; [unrolled: 2-line block ×3, first 2 shown]
	v_fmac_f16_e32 v41, v8, v22
	v_fma_f16 v8, v12, v25, -v42
	v_fmac_f16_e32 v43, v17, v25
	v_fma_f16 v15, v37, v21, -v38
	;; [unrolled: 2-line block ×3, first 2 shown]
	v_add_f16_e32 v12, v4, v11
	v_add_f16_e32 v14, v24, v45
	;; [unrolled: 1-line block ×4, first 2 shown]
	v_sub_f16_e32 v4, v4, v11
	v_sub_f16_e32 v11, v24, v45
	;; [unrolled: 1-line block ×4, first 2 shown]
	v_add_f16_e32 v18, v15, v5
	v_add_f16_e32 v19, v39, v41
	v_sub_f16_e32 v5, v5, v15
	v_sub_f16_e32 v15, v41, v39
	v_add_f16_e32 v20, v16, v12
	v_add_f16_e32 v21, v17, v14
	v_sub_f16_e32 v22, v16, v12
	v_sub_f16_e32 v23, v17, v14
	;; [unrolled: 1-line block ×6, first 2 shown]
	v_add_f16_e32 v24, v5, v8
	v_add_f16_e32 v25, v15, v10
	v_sub_f16_e32 v26, v5, v8
	v_sub_f16_e32 v35, v15, v10
	;; [unrolled: 1-line block ×4, first 2 shown]
	v_add_f16_e32 v18, v18, v20
	v_add_f16_e32 v19, v19, v21
	v_sub_f16_e32 v5, v4, v5
	v_sub_f16_e32 v15, v11, v15
	v_add_f16_e32 v4, v24, v4
	v_add_f16_e32 v11, v25, v11
	v_mul_f16_e32 v12, 0x3a52, v12
	v_mul_f16_e32 v14, 0x3a52, v14
	;; [unrolled: 1-line block ×8, first 2 shown]
	v_add_f16_e32 v9, v9, v18
	v_add_f16_e32 v13, v13, v19
	v_fmamk_f16 v16, v16, 0x2b26, v12
	v_fmamk_f16 v17, v17, 0x2b26, v14
	v_fma_f16 v20, v22, 0x39e0, -v20
	v_fma_f16 v21, v23, 0x39e0, -v21
	;; [unrolled: 1-line block ×4, first 2 shown]
	v_fmamk_f16 v22, v5, 0x3574, v24
	v_fmamk_f16 v23, v15, 0x3574, v25
	v_fma_f16 v8, v8, 0x3b00, -v24
	v_fma_f16 v10, v10, 0x3b00, -v25
	;; [unrolled: 1-line block ×4, first 2 shown]
	v_fmamk_f16 v18, v18, 0xbcab, v9
	v_fmamk_f16 v19, v19, 0xbcab, v13
	v_fmac_f16_e32 v22, 0x370e, v4
	v_fmac_f16_e32 v23, 0x370e, v11
	;; [unrolled: 1-line block ×6, first 2 shown]
	v_pack_b32_f16 v4, v9, v13
	v_add_f16_e32 v9, v16, v18
	v_add_f16_e32 v11, v17, v19
	;; [unrolled: 1-line block ×6, first 2 shown]
	global_store_dword v[0:1], v4, off
	v_add_f16_e32 v0, v23, v9
	v_sub_f16_e32 v1, v11, v22
	v_add_f16_e32 v4, v15, v12
	v_sub_f16_e32 v17, v14, v5
	v_sub_f16_e32 v18, v13, v10
	v_add_f16_e32 v19, v8, v16
	v_add_f16_e32 v10, v10, v13
	v_sub_f16_e32 v8, v16, v8
	v_sub_f16_e32 v12, v12, v15
	v_add_f16_e32 v5, v5, v14
	v_sub_f16_e32 v9, v9, v23
	v_add_f16_e32 v11, v22, v11
	v_pack_b32_f16 v0, v0, v1
	v_pack_b32_f16 v1, v4, v17
	;; [unrolled: 1-line block ×6, first 2 shown]
	global_store_dword v[27:28], v0, off
	global_store_dword v[29:30], v1, off
	;; [unrolled: 1-line block ×6, first 2 shown]
.LBB0_28:
	s_endpgm
	.section	.rodata,"a",@progbits
	.p2align	6, 0x0
	.amdhsa_kernel fft_rtc_fwd_len1694_factors_11_2_11_7_wgs_154_tpt_154_halfLds_half_op_CI_CI_unitstride_sbrr_dirReg
		.amdhsa_group_segment_fixed_size 0
		.amdhsa_private_segment_fixed_size 0
		.amdhsa_kernarg_size 104
		.amdhsa_user_sgpr_count 6
		.amdhsa_user_sgpr_private_segment_buffer 1
		.amdhsa_user_sgpr_dispatch_ptr 0
		.amdhsa_user_sgpr_queue_ptr 0
		.amdhsa_user_sgpr_kernarg_segment_ptr 1
		.amdhsa_user_sgpr_dispatch_id 0
		.amdhsa_user_sgpr_flat_scratch_init 0
		.amdhsa_user_sgpr_private_segment_size 0
		.amdhsa_wavefront_size32 1
		.amdhsa_uses_dynamic_stack 0
		.amdhsa_system_sgpr_private_segment_wavefront_offset 0
		.amdhsa_system_sgpr_workgroup_id_x 1
		.amdhsa_system_sgpr_workgroup_id_y 0
		.amdhsa_system_sgpr_workgroup_id_z 0
		.amdhsa_system_sgpr_workgroup_info 0
		.amdhsa_system_vgpr_workitem_id 0
		.amdhsa_next_free_vgpr 65
		.amdhsa_next_free_sgpr 27
		.amdhsa_reserve_vcc 1
		.amdhsa_reserve_flat_scratch 0
		.amdhsa_float_round_mode_32 0
		.amdhsa_float_round_mode_16_64 0
		.amdhsa_float_denorm_mode_32 3
		.amdhsa_float_denorm_mode_16_64 3
		.amdhsa_dx10_clamp 1
		.amdhsa_ieee_mode 1
		.amdhsa_fp16_overflow 0
		.amdhsa_workgroup_processor_mode 1
		.amdhsa_memory_ordered 1
		.amdhsa_forward_progress 0
		.amdhsa_shared_vgpr_count 0
		.amdhsa_exception_fp_ieee_invalid_op 0
		.amdhsa_exception_fp_denorm_src 0
		.amdhsa_exception_fp_ieee_div_zero 0
		.amdhsa_exception_fp_ieee_overflow 0
		.amdhsa_exception_fp_ieee_underflow 0
		.amdhsa_exception_fp_ieee_inexact 0
		.amdhsa_exception_int_div_zero 0
	.end_amdhsa_kernel
	.text
.Lfunc_end0:
	.size	fft_rtc_fwd_len1694_factors_11_2_11_7_wgs_154_tpt_154_halfLds_half_op_CI_CI_unitstride_sbrr_dirReg, .Lfunc_end0-fft_rtc_fwd_len1694_factors_11_2_11_7_wgs_154_tpt_154_halfLds_half_op_CI_CI_unitstride_sbrr_dirReg
                                        ; -- End function
	.section	.AMDGPU.csdata,"",@progbits
; Kernel info:
; codeLenInByte = 9956
; NumSgprs: 29
; NumVgprs: 65
; ScratchSize: 0
; MemoryBound: 0
; FloatMode: 240
; IeeeMode: 1
; LDSByteSize: 0 bytes/workgroup (compile time only)
; SGPRBlocks: 3
; VGPRBlocks: 8
; NumSGPRsForWavesPerEU: 29
; NumVGPRsForWavesPerEU: 65
; Occupancy: 12
; WaveLimiterHint : 1
; COMPUTE_PGM_RSRC2:SCRATCH_EN: 0
; COMPUTE_PGM_RSRC2:USER_SGPR: 6
; COMPUTE_PGM_RSRC2:TRAP_HANDLER: 0
; COMPUTE_PGM_RSRC2:TGID_X_EN: 1
; COMPUTE_PGM_RSRC2:TGID_Y_EN: 0
; COMPUTE_PGM_RSRC2:TGID_Z_EN: 0
; COMPUTE_PGM_RSRC2:TIDIG_COMP_CNT: 0
	.text
	.p2alignl 6, 3214868480
	.fill 48, 4, 3214868480
	.type	__hip_cuid_f741e86e7f866668,@object ; @__hip_cuid_f741e86e7f866668
	.section	.bss,"aw",@nobits
	.globl	__hip_cuid_f741e86e7f866668
__hip_cuid_f741e86e7f866668:
	.byte	0                               ; 0x0
	.size	__hip_cuid_f741e86e7f866668, 1

	.ident	"AMD clang version 19.0.0git (https://github.com/RadeonOpenCompute/llvm-project roc-6.4.0 25133 c7fe45cf4b819c5991fe208aaa96edf142730f1d)"
	.section	".note.GNU-stack","",@progbits
	.addrsig
	.addrsig_sym __hip_cuid_f741e86e7f866668
	.amdgpu_metadata
---
amdhsa.kernels:
  - .args:
      - .actual_access:  read_only
        .address_space:  global
        .offset:         0
        .size:           8
        .value_kind:     global_buffer
      - .offset:         8
        .size:           8
        .value_kind:     by_value
      - .actual_access:  read_only
        .address_space:  global
        .offset:         16
        .size:           8
        .value_kind:     global_buffer
      - .actual_access:  read_only
        .address_space:  global
        .offset:         24
        .size:           8
        .value_kind:     global_buffer
      - .actual_access:  read_only
        .address_space:  global
        .offset:         32
        .size:           8
        .value_kind:     global_buffer
      - .offset:         40
        .size:           8
        .value_kind:     by_value
      - .actual_access:  read_only
        .address_space:  global
        .offset:         48
        .size:           8
        .value_kind:     global_buffer
      - .actual_access:  read_only
        .address_space:  global
        .offset:         56
        .size:           8
        .value_kind:     global_buffer
      - .offset:         64
        .size:           4
        .value_kind:     by_value
      - .actual_access:  read_only
        .address_space:  global
        .offset:         72
        .size:           8
        .value_kind:     global_buffer
      - .actual_access:  read_only
        .address_space:  global
        .offset:         80
        .size:           8
        .value_kind:     global_buffer
      - .actual_access:  read_only
        .address_space:  global
        .offset:         88
        .size:           8
        .value_kind:     global_buffer
      - .actual_access:  write_only
        .address_space:  global
        .offset:         96
        .size:           8
        .value_kind:     global_buffer
    .group_segment_fixed_size: 0
    .kernarg_segment_align: 8
    .kernarg_segment_size: 104
    .language:       OpenCL C
    .language_version:
      - 2
      - 0
    .max_flat_workgroup_size: 154
    .name:           fft_rtc_fwd_len1694_factors_11_2_11_7_wgs_154_tpt_154_halfLds_half_op_CI_CI_unitstride_sbrr_dirReg
    .private_segment_fixed_size: 0
    .sgpr_count:     29
    .sgpr_spill_count: 0
    .symbol:         fft_rtc_fwd_len1694_factors_11_2_11_7_wgs_154_tpt_154_halfLds_half_op_CI_CI_unitstride_sbrr_dirReg.kd
    .uniform_work_group_size: 1
    .uses_dynamic_stack: false
    .vgpr_count:     65
    .vgpr_spill_count: 0
    .wavefront_size: 32
    .workgroup_processor_mode: 1
amdhsa.target:   amdgcn-amd-amdhsa--gfx1030
amdhsa.version:
  - 1
  - 2
...

	.end_amdgpu_metadata
